;; amdgpu-corpus repo=ROCm/rocFFT kind=compiled arch=gfx906 opt=O3
	.text
	.amdgcn_target "amdgcn-amd-amdhsa--gfx906"
	.amdhsa_code_object_version 6
	.protected	fft_rtc_fwd_len128_factors_16_8_wgs_256_tpt_16_dp_ip_CI_sbcc_twdbase5_3step_dirReg_intrinsicReadWrite ; -- Begin function fft_rtc_fwd_len128_factors_16_8_wgs_256_tpt_16_dp_ip_CI_sbcc_twdbase5_3step_dirReg_intrinsicReadWrite
	.globl	fft_rtc_fwd_len128_factors_16_8_wgs_256_tpt_16_dp_ip_CI_sbcc_twdbase5_3step_dirReg_intrinsicReadWrite
	.p2align	8
	.type	fft_rtc_fwd_len128_factors_16_8_wgs_256_tpt_16_dp_ip_CI_sbcc_twdbase5_3step_dirReg_intrinsicReadWrite,@function
fft_rtc_fwd_len128_factors_16_8_wgs_256_tpt_16_dp_ip_CI_sbcc_twdbase5_3step_dirReg_intrinsicReadWrite: ; @fft_rtc_fwd_len128_factors_16_8_wgs_256_tpt_16_dp_ip_CI_sbcc_twdbase5_3step_dirReg_intrinsicReadWrite
; %bb.0:
	s_load_dwordx8 s[8:15], s[4:5], 0x8
	s_movk_i32 s0, 0x60
	v_cmp_gt_u32_e32 vcc, s0, v0
	s_and_saveexec_b64 s[0:1], vcc
	s_cbranch_execz .LBB0_2
; %bb.1:
	v_lshlrev_b32_e32 v5, 4, v0
	s_waitcnt lgkmcnt(0)
	global_load_dwordx4 v[1:4], v5, s[8:9]
	v_add_u32_e32 v5, 0, v5
	v_add_u32_e32 v5, 0x8000, v5
	s_waitcnt vmcnt(0)
	ds_write2_b64 v5, v[1:2], v[3:4] offset1:1
.LBB0_2:
	s_or_b64 exec, exec, s[0:1]
	s_waitcnt lgkmcnt(0)
	s_load_dwordx2 s[22:23], s[12:13], 0x8
	s_mov_b32 s7, 0
	s_mov_b64 s[24:25], 0
	s_waitcnt lgkmcnt(0)
	s_add_u32 s0, s22, -1
	s_addc_u32 s1, s23, -1
	s_lshr_b64 s[0:1], s[0:1], 4
	s_add_u32 s2, s0, 1
	s_addc_u32 s3, s1, 0
	v_mov_b32_e32 v1, s2
	v_mov_b32_e32 v2, s3
	v_cmp_lt_u64_e32 vcc, s[6:7], v[1:2]
	s_cbranch_vccnz .LBB0_4
; %bb.3:
	v_cvt_f32_u32_e32 v1, s2
	s_sub_i32 s0, 0, s2
	s_mov_b32 s25, s7
	v_rcp_iflag_f32_e32 v1, v1
	v_mul_f32_e32 v1, 0x4f7ffffe, v1
	v_cvt_u32_f32_e32 v1, v1
	v_readfirstlane_b32 s1, v1
	s_mul_i32 s0, s0, s1
	s_mul_hi_u32 s0, s1, s0
	s_add_i32 s1, s1, s0
	s_mul_hi_u32 s0, s6, s1
	s_mul_i32 s8, s0, s2
	s_sub_i32 s8, s6, s8
	s_add_i32 s1, s0, 1
	s_sub_i32 s9, s8, s2
	s_cmp_ge_u32 s8, s2
	s_cselect_b32 s0, s1, s0
	s_cselect_b32 s8, s9, s8
	s_add_i32 s1, s0, 1
	s_cmp_ge_u32 s8, s2
	s_cselect_b32 s24, s1, s0
.LBB0_4:
	s_load_dwordx4 s[16:19], s[14:15], 0x0
	s_mul_i32 s0, s24, s3
	s_mul_hi_u32 s1, s24, s2
	s_add_i32 s1, s1, s0
	s_mul_i32 s0, s24, s2
	s_sub_u32 s0, s6, s0
	s_subb_u32 s1, 0, s1
	v_mov_b32_e32 v1, s0
	v_alignbit_b32 v1, s1, v1, 28
	s_waitcnt lgkmcnt(0)
	v_mul_lo_u32 v1, s18, v1
	s_load_dwordx2 s[8:9], s[4:5], 0x58
	s_load_dwordx2 s[20:21], s[4:5], 0x0
	s_lshl_b64 s[4:5], s[0:1], 4
	s_mul_hi_u32 s0, s18, s4
	v_add_u32_e32 v1, s0, v1
	s_mul_i32 s0, s19, s4
	v_add_u32_e32 v4, s0, v1
	v_cmp_lt_u64_e64 s[0:1], s[10:11], 3
	s_mul_i32 s17, s18, s4
	v_mov_b32_e32 v3, s17
	s_and_b64 vcc, exec, s[0:1]
	s_cbranch_vccnz .LBB0_11
; %bb.5:
	s_add_u32 s26, s14, 16
	s_addc_u32 s27, s15, 0
	s_add_u32 s12, s12, 16
	v_mov_b32_e32 v1, s10
	s_addc_u32 s13, s13, 0
	s_mov_b64 s[28:29], 2
	s_mov_b32 s30, 0
	v_mov_b32_e32 v2, s11
	s_branch .LBB0_7
.LBB0_6:                                ;   in Loop: Header=BB0_7 Depth=1
	s_mul_i32 s3, s34, s3
	s_mul_hi_u32 s17, s34, s2
	s_add_i32 s3, s17, s3
	s_mul_i32 s17, s35, s2
	s_add_i32 s3, s3, s17
	s_mul_i32 s17, s0, s35
	s_mul_hi_u32 s19, s0, s34
	s_load_dwordx2 s[36:37], s[26:27], 0x0
	s_add_i32 s17, s19, s17
	s_mul_i32 s19, s1, s34
	s_add_i32 s17, s17, s19
	s_mul_i32 s19, s0, s34
	s_sub_u32 s19, s24, s19
	s_subb_u32 s17, s25, s17
	s_waitcnt lgkmcnt(0)
	s_mul_i32 s17, s36, s17
	s_mul_hi_u32 s24, s36, s19
	s_add_i32 s17, s24, s17
	s_mul_i32 s24, s37, s19
	s_add_i32 s17, s17, s24
	s_mul_i32 s19, s36, s19
	s_add_u32 s28, s28, 1
	v_mov_b32_e32 v5, s17
	v_add_co_u32_e32 v3, vcc, s19, v3
	s_addc_u32 s29, s29, 0
	v_addc_co_u32_e32 v4, vcc, v5, v4, vcc
	s_add_u32 s26, s26, 8
	s_addc_u32 s27, s27, 0
	v_cmp_ge_u64_e32 vcc, s[28:29], v[1:2]
	s_add_u32 s12, s12, 8
	s_mul_i32 s2, s34, s2
	s_addc_u32 s13, s13, 0
	s_mov_b64 s[24:25], s[0:1]
	s_cbranch_vccnz .LBB0_12
.LBB0_7:                                ; =>This Inner Loop Header: Depth=1
	s_load_dwordx2 s[34:35], s[12:13], 0x0
	s_waitcnt lgkmcnt(0)
	s_or_b64 s[0:1], s[24:25], s[34:35]
	s_mov_b32 s31, s1
	s_cmp_lg_u64 s[30:31], 0
	s_cbranch_scc0 .LBB0_9
; %bb.8:                                ;   in Loop: Header=BB0_7 Depth=1
	v_cvt_f32_u32_e32 v5, s34
	v_cvt_f32_u32_e32 v6, s35
	s_sub_u32 s0, 0, s34
	s_subb_u32 s1, 0, s35
	v_mac_f32_e32 v5, 0x4f800000, v6
	v_rcp_f32_e32 v5, v5
	v_mul_f32_e32 v5, 0x5f7ffffc, v5
	v_mul_f32_e32 v6, 0x2f800000, v5
	v_trunc_f32_e32 v6, v6
	v_mac_f32_e32 v5, 0xcf800000, v6
	v_cvt_u32_f32_e32 v6, v6
	v_cvt_u32_f32_e32 v5, v5
	v_readfirstlane_b32 s17, v6
	v_readfirstlane_b32 s19, v5
	s_mul_i32 s31, s0, s17
	s_mul_hi_u32 s36, s0, s19
	s_mul_i32 s33, s1, s19
	s_add_i32 s31, s36, s31
	s_mul_i32 s37, s0, s19
	s_add_i32 s31, s31, s33
	s_mul_hi_u32 s33, s19, s31
	s_mul_i32 s36, s19, s31
	s_mul_hi_u32 s19, s19, s37
	s_add_u32 s19, s19, s36
	s_addc_u32 s33, 0, s33
	s_mul_hi_u32 s38, s17, s37
	s_mul_i32 s37, s17, s37
	s_add_u32 s19, s19, s37
	s_mul_hi_u32 s36, s17, s31
	s_addc_u32 s19, s33, s38
	s_addc_u32 s33, s36, 0
	s_mul_i32 s31, s17, s31
	s_add_u32 s19, s19, s31
	s_addc_u32 s31, 0, s33
	v_add_co_u32_e32 v5, vcc, s19, v5
	s_cmp_lg_u64 vcc, 0
	s_addc_u32 s17, s17, s31
	v_readfirstlane_b32 s31, v5
	s_mul_i32 s19, s0, s17
	s_mul_hi_u32 s33, s0, s31
	s_add_i32 s19, s33, s19
	s_mul_i32 s1, s1, s31
	s_add_i32 s19, s19, s1
	s_mul_i32 s0, s0, s31
	s_mul_hi_u32 s33, s17, s0
	s_mul_i32 s36, s17, s0
	s_mul_i32 s38, s31, s19
	s_mul_hi_u32 s0, s31, s0
	s_mul_hi_u32 s37, s31, s19
	s_add_u32 s0, s0, s38
	s_addc_u32 s31, 0, s37
	s_add_u32 s0, s0, s36
	s_mul_hi_u32 s1, s17, s19
	s_addc_u32 s0, s31, s33
	s_addc_u32 s1, s1, 0
	s_mul_i32 s19, s17, s19
	s_add_u32 s0, s0, s19
	s_addc_u32 s1, 0, s1
	v_add_co_u32_e32 v5, vcc, s0, v5
	s_cmp_lg_u64 vcc, 0
	s_addc_u32 s0, s17, s1
	v_readfirstlane_b32 s19, v5
	s_mul_i32 s17, s24, s0
	s_mul_hi_u32 s31, s24, s19
	s_mul_hi_u32 s1, s24, s0
	s_add_u32 s17, s31, s17
	s_addc_u32 s1, 0, s1
	s_mul_hi_u32 s33, s25, s19
	s_mul_i32 s19, s25, s19
	s_add_u32 s17, s17, s19
	s_mul_hi_u32 s31, s25, s0
	s_addc_u32 s1, s1, s33
	s_addc_u32 s17, s31, 0
	s_mul_i32 s0, s25, s0
	s_add_u32 s19, s1, s0
	s_addc_u32 s17, 0, s17
	s_mul_i32 s0, s34, s17
	s_mul_hi_u32 s1, s34, s19
	s_add_i32 s0, s1, s0
	s_mul_i32 s1, s35, s19
	s_add_i32 s31, s0, s1
	s_mul_i32 s1, s34, s19
	v_mov_b32_e32 v5, s1
	s_sub_i32 s0, s25, s31
	v_sub_co_u32_e32 v5, vcc, s24, v5
	s_cmp_lg_u64 vcc, 0
	s_subb_u32 s33, s0, s35
	v_subrev_co_u32_e64 v6, s[0:1], s34, v5
	s_cmp_lg_u64 s[0:1], 0
	s_subb_u32 s0, s33, 0
	s_cmp_ge_u32 s0, s35
	v_readfirstlane_b32 s33, v6
	s_cselect_b32 s1, -1, 0
	s_cmp_ge_u32 s33, s34
	s_cselect_b32 s33, -1, 0
	s_cmp_eq_u32 s0, s35
	s_cselect_b32 s0, s33, s1
	s_add_u32 s1, s19, 1
	s_addc_u32 s33, s17, 0
	s_add_u32 s36, s19, 2
	s_addc_u32 s37, s17, 0
	s_cmp_lg_u32 s0, 0
	s_cselect_b32 s0, s36, s1
	s_cselect_b32 s1, s37, s33
	s_cmp_lg_u64 vcc, 0
	s_subb_u32 s31, s25, s31
	s_cmp_ge_u32 s31, s35
	v_readfirstlane_b32 s36, v5
	s_cselect_b32 s33, -1, 0
	s_cmp_ge_u32 s36, s34
	s_cselect_b32 s36, -1, 0
	s_cmp_eq_u32 s31, s35
	s_cselect_b32 s31, s36, s33
	s_cmp_lg_u32 s31, 0
	s_cselect_b32 s1, s1, s17
	s_cselect_b32 s0, s0, s19
	s_cbranch_execnz .LBB0_6
	s_branch .LBB0_10
.LBB0_9:                                ;   in Loop: Header=BB0_7 Depth=1
                                        ; implicit-def: $sgpr0_sgpr1
.LBB0_10:                               ;   in Loop: Header=BB0_7 Depth=1
	v_cvt_f32_u32_e32 v5, s34
	s_sub_i32 s0, 0, s34
	v_rcp_iflag_f32_e32 v5, v5
	v_mul_f32_e32 v5, 0x4f7ffffe, v5
	v_cvt_u32_f32_e32 v5, v5
	v_readfirstlane_b32 s1, v5
	s_mul_i32 s0, s0, s1
	s_mul_hi_u32 s0, s1, s0
	s_add_i32 s1, s1, s0
	s_mul_hi_u32 s0, s24, s1
	s_mul_i32 s17, s0, s34
	s_sub_i32 s17, s24, s17
	s_add_i32 s1, s0, 1
	s_sub_i32 s19, s17, s34
	s_cmp_ge_u32 s17, s34
	s_cselect_b32 s0, s1, s0
	s_cselect_b32 s17, s19, s17
	s_add_i32 s1, s0, 1
	s_cmp_ge_u32 s17, s34
	s_cselect_b32 s0, s1, s0
	s_mov_b32 s1, s30
	s_branch .LBB0_6
.LBB0_11:
	v_mov_b32_e32 v1, s24
	v_mov_b32_e32 v2, s25
	s_branch .LBB0_14
.LBB0_12:
	v_mov_b32_e32 v1, s2
	v_mov_b32_e32 v2, s3
	v_cmp_lt_u64_e32 vcc, s[6:7], v[1:2]
	v_mov_b32_e32 v1, 0
	v_mov_b32_e32 v2, 0
	s_cbranch_vccnz .LBB0_14
; %bb.13:
	v_cvt_f32_u32_e32 v1, s2
	s_sub_i32 s0, 0, s2
	v_rcp_iflag_f32_e32 v1, v1
	v_mul_f32_e32 v1, 0x4f7ffffe, v1
	v_cvt_u32_f32_e32 v1, v1
	v_mul_lo_u32 v2, s0, v1
	v_mul_hi_u32 v2, v1, v2
	v_add_u32_e32 v1, v1, v2
	v_mul_hi_u32 v1, s6, v1
	v_mul_lo_u32 v2, v1, s2
	v_add_u32_e32 v4, 1, v1
	v_sub_u32_e32 v2, s6, v2
	v_subrev_u32_e32 v5, s2, v2
	v_cmp_le_u32_e32 vcc, s2, v2
	v_cndmask_b32_e32 v2, v2, v5, vcc
	v_cndmask_b32_e32 v1, v1, v4, vcc
	v_add_u32_e32 v4, 1, v1
	v_cmp_le_u32_e32 vcc, s2, v2
	v_cndmask_b32_e32 v1, v1, v4, vcc
.LBB0_14:
	s_lshl_b64 s[0:1], s[10:11], 3
	s_add_u32 s0, s14, s0
	s_addc_u32 s1, s15, s1
	s_load_dword s0, s[0:1], 0x0
	v_mov_b32_e32 v4, s22
	v_and_b32_e32 v75, 15, v0
	v_mov_b32_e32 v5, s23
	v_mov_b32_e32 v67, s5
	s_waitcnt lgkmcnt(0)
	v_mul_lo_u32 v1, s0, v1
	s_add_u32 s0, s4, 16
	s_addc_u32 s1, s5, 0
	v_cmp_le_u64_e32 vcc, s[0:1], v[4:5]
	v_mad_u64_u32 v[64:65], s[0:1], s18, v75, 0
	s_movk_i32 s0, 0x80
	s_movk_i32 s1, 0x7f
	v_or_b32_e32 v66, s4, v75
	v_cmp_lt_u32_e64 s[2:3], s1, v0
	v_cmp_gt_u32_e64 s[0:1], s0, v0
	v_lshrrev_b32_e32 v68, 4, v0
	v_cndmask_b32_e64 v0, 0, 1, s[0:1]
	v_cmp_gt_u64_e64 s[0:1], s[22:23], v[66:67]
	s_or_b64 s[4:5], s[2:3], vcc
	v_cndmask_b32_e64 v2, 0, 1, s[0:1]
	v_cndmask_b32_e64 v0, v2, v0, s[4:5]
	v_and_b32_e32 v0, 1, v0
	v_cmp_eq_u32_e64 s[4:5], 1, v0
	v_add_u32_e32 v0, 8, v68
	v_mul_lo_u32 v0, s16, v0
	v_mul_lo_u32 v65, s16, v68
	v_add_u32_e32 v1, v1, v3
	v_lshlrev_b32_e32 v67, 4, v1
	v_add_lshl_u32 v0, v64, v0, 4
	v_cndmask_b32_e64 v9, -1, v0, s[4:5]
	v_or_b32_e32 v0, 16, v68
	v_mul_lo_u32 v69, s16, v0
	v_add_u32_e32 v0, 24, v68
	v_mul_lo_u32 v10, s16, v0
	v_add_lshl_u32 v2, v64, v65, 4
	v_cndmask_b32_e64 v8, -1, v2, s[4:5]
	s_mov_b32 s11, 0x20000
	s_mov_b32 s10, -2
	v_readfirstlane_b32 s6, v67
	s_nop 4
	buffer_load_dwordx4 v[0:3], v8, s[8:11], s6 offen
	buffer_load_dwordx4 v[4:7], v9, s[8:11], s6 offen
	v_add_lshl_u32 v8, v64, v69, 4
	v_cndmask_b32_e64 v16, -1, v8, s[4:5]
	v_add_lshl_u32 v8, v64, v10, 4
	v_cndmask_b32_e64 v17, -1, v8, s[4:5]
	v_or_b32_e32 v8, 32, v68
	v_mul_lo_u32 v70, s16, v8
	v_add_u32_e32 v8, 40, v68
	v_mul_lo_u32 v18, s16, v8
	buffer_load_dwordx4 v[8:11], v16, s[8:11], s6 offen
	buffer_load_dwordx4 v[12:15], v17, s[8:11], s6 offen
	v_add_lshl_u32 v16, v64, v70, 4
	v_cndmask_b32_e64 v24, -1, v16, s[4:5]
	v_add_lshl_u32 v16, v64, v18, 4
	v_or_b32_e32 v73, 48, v68
	v_cndmask_b32_e64 v25, -1, v16, s[4:5]
	v_mul_lo_u32 v71, s16, v73
	v_add_u32_e32 v16, 56, v68
	v_mul_lo_u32 v26, s16, v16
	buffer_load_dwordx4 v[16:19], v24, s[8:11], s6 offen
	buffer_load_dwordx4 v[20:23], v25, s[8:11], s6 offen
	v_add_lshl_u32 v24, v64, v71, 4
	v_cndmask_b32_e64 v32, -1, v24, s[4:5]
	v_add_lshl_u32 v24, v64, v26, 4
	v_cndmask_b32_e64 v33, -1, v24, s[4:5]
	v_or_b32_e32 v24, 64, v68
	v_mul_lo_u32 v72, s16, v24
	v_add_u32_e32 v24, 0x48, v68
	v_mul_lo_u32 v34, s16, v24
	buffer_load_dwordx4 v[24:27], v32, s[8:11], s6 offen
	buffer_load_dwordx4 v[28:31], v33, s[8:11], s6 offen
	v_add_lshl_u32 v32, v64, v72, 4
	v_cndmask_b32_e64 v36, -1, v32, s[4:5]
	v_add_lshl_u32 v32, v64, v34, 4
	v_cndmask_b32_e64 v37, -1, v32, s[4:5]
	v_or_b32_e32 v32, 0x50, v68
	v_mul_lo_u32 v38, s16, v32
	v_add_u32_e32 v32, 0x58, v68
	v_mul_lo_u32 v39, s16, v32
	buffer_load_dwordx4 v[32:35], v36, s[8:11], s6 offen
	buffer_load_dwordx4 v[40:43], v37, s[8:11], s6 offen
	v_add_lshl_u32 v36, v64, v38, 4
	v_or_b32_e32 v38, 0x60, v68
	v_add_lshl_u32 v37, v64, v39, 4
	v_mul_lo_u32 v38, s16, v38
	v_add_u32_e32 v39, 0x68, v68
	v_mul_lo_u32 v39, s16, v39
	v_cndmask_b32_e64 v36, -1, v36, s[4:5]
	v_cndmask_b32_e64 v37, -1, v37, s[4:5]
	buffer_load_dwordx4 v[44:47], v36, s[8:11], s6 offen
	buffer_load_dwordx4 v[56:59], v37, s[8:11], s6 offen
	v_add_lshl_u32 v36, v64, v38, 4
	v_cndmask_b32_e64 v52, -1, v36, s[4:5]
	v_add_lshl_u32 v36, v64, v39, 4
	v_cndmask_b32_e64 v53, -1, v36, s[4:5]
	v_or_b32_e32 v36, 0x70, v68
	v_mul_lo_u32 v54, s16, v36
	v_add_u32_e32 v36, 0x78, v68
	v_mul_lo_u32 v55, s16, v36
	buffer_load_dwordx4 v[36:39], v52, s[8:11], s6 offen
	buffer_load_dwordx4 v[48:51], v53, s[8:11], s6 offen
	v_add_lshl_u32 v52, v64, v54, 4
	v_cndmask_b32_e64 v74, -1, v52, s[4:5]
	v_add_lshl_u32 v52, v64, v55, 4
	v_cndmask_b32_e64 v76, -1, v52, s[4:5]
	buffer_load_dwordx4 v[52:55], v74, s[8:11], s6 offen
	buffer_load_dwordx4 v[60:63], v76, s[8:11], s6 offen
	v_lshlrev_b32_e32 v74, 8, v68
	s_and_saveexec_b64 s[4:5], s[2:3]
	s_xor_b64 s[2:3], exec, s[4:5]
; %bb.15:
	v_lshlrev_b32_e32 v74, 8, v68
                                        ; implicit-def: $vgpr0_vgpr1_vgpr2_vgpr3
                                        ; implicit-def: $vgpr4_vgpr5_vgpr6_vgpr7
                                        ; implicit-def: $vgpr8_vgpr9_vgpr10_vgpr11
                                        ; implicit-def: $vgpr12_vgpr13_vgpr14_vgpr15
                                        ; implicit-def: $vgpr16_vgpr17_vgpr18_vgpr19
                                        ; implicit-def: $vgpr20_vgpr21_vgpr22_vgpr23
                                        ; implicit-def: $vgpr24_vgpr25_vgpr26_vgpr27
                                        ; implicit-def: $vgpr28_vgpr29_vgpr30_vgpr31
                                        ; implicit-def: $vgpr32_vgpr33_vgpr34_vgpr35
                                        ; implicit-def: $vgpr40_vgpr41_vgpr42_vgpr43
                                        ; implicit-def: $vgpr44_vgpr45_vgpr46_vgpr47
                                        ; implicit-def: $vgpr56_vgpr57_vgpr58_vgpr59
                                        ; implicit-def: $vgpr36_vgpr37_vgpr38_vgpr39
                                        ; implicit-def: $vgpr48_vgpr49_vgpr50_vgpr51
                                        ; implicit-def: $vgpr52_vgpr53_vgpr54_vgpr55
                                        ; implicit-def: $vgpr60_vgpr61_vgpr62_vgpr63
; %bb.16:
	s_or_saveexec_b64 s[2:3], s[2:3]
	v_lshlrev_b32_e32 v75, 4, v75
	s_xor_b64 exec, exec, s[2:3]
	s_cbranch_execz .LBB0_18
; %bb.17:
	s_waitcnt vmcnt(7)
	v_add_f64 v[34:35], v[2:3], -v[34:35]
	s_waitcnt vmcnt(3)
	v_add_f64 v[36:37], v[16:17], -v[36:37]
	v_add_f64 v[58:59], v[14:15], -v[58:59]
	;; [unrolled: 1-line block ×3, first 2 shown]
	s_waitcnt vmcnt(0)
	v_add_f64 v[60:61], v[28:29], -v[60:61]
	v_add_f64 v[62:63], v[30:31], -v[62:63]
	;; [unrolled: 1-line block ×12, first 2 shown]
	v_add_f64 v[76:77], v[34:35], v[36:37]
	v_add_f64 v[78:79], v[46:47], v[52:53]
	v_fma_f64 v[28:29], v[28:29], 2.0, -v[60:61]
	v_fma_f64 v[30:31], v[30:31], 2.0, -v[62:63]
	v_add_f64 v[80:81], v[42:43], v[48:49]
	v_add_f64 v[60:61], v[58:59], v[60:61]
	v_add_f64 v[62:63], v[56:57], -v[62:63]
	v_add_f64 v[82:83], v[40:41], -v[50:51]
	;; [unrolled: 1-line block ×4, first 2 shown]
	s_mov_b32 s4, 0x667f3bcd
	s_mov_b32 s5, 0x3fe6a09e
	v_fma_f64 v[20:21], v[20:21], 2.0, -v[48:49]
	v_fma_f64 v[22:23], v[22:23], 2.0, -v[50:51]
	v_fma_f64 v[48:49], v[78:79], s[4:5], v[76:77]
	v_fma_f64 v[50:51], v[60:61], s[4:5], v[80:81]
	v_fma_f64 v[24:25], v[24:25], 2.0, -v[52:53]
	v_fma_f64 v[26:27], v[26:27], 2.0, -v[54:55]
	v_fma_f64 v[52:53], v[62:63], s[4:5], v[82:83]
	v_fma_f64 v[54:55], v[84:85], s[4:5], v[86:87]
	s_mov_b32 s7, 0xbfe6a09e
	s_mov_b32 s6, s4
	v_fma_f64 v[16:17], v[16:17], 2.0, -v[36:37]
	v_fma_f64 v[18:19], v[18:19], 2.0, -v[38:39]
	v_fma_f64 v[36:37], v[84:85], s[4:5], v[48:49]
	v_fma_f64 v[38:39], v[62:63], s[4:5], v[50:51]
	;; [unrolled: 1-line block ×4, first 2 shown]
	v_fma_f64 v[52:53], v[6:7], 2.0, -v[42:43]
	v_fma_f64 v[54:55], v[4:5], 2.0, -v[40:41]
	;; [unrolled: 1-line block ×15, first 2 shown]
	v_add_f64 v[20:21], v[54:55], -v[20:21]
	v_add_f64 v[30:31], v[14:15], -v[30:31]
	;; [unrolled: 1-line block ×4, first 2 shown]
	v_fma_f64 v[10:11], v[4:5], s[6:7], v[40:41]
	v_fma_f64 v[46:47], v[6:7], s[6:7], v[32:33]
	v_fma_f64 v[92:93], v[8:9], 2.0, -v[44:45]
	v_add_f64 v[22:23], v[52:53], -v[22:23]
	v_add_f64 v[28:29], v[12:13], -v[28:29]
	v_fma_f64 v[8:9], v[0:1], s[6:7], v[42:43]
	v_fma_f64 v[44:45], v[2:3], s[6:7], v[34:35]
	v_add_f64 v[60:61], v[20:21], -v[30:31]
	v_add_f64 v[62:63], v[16:17], -v[26:27]
	v_fma_f64 v[84:85], v[0:1], s[6:7], v[10:11]
	v_fma_f64 v[96:97], v[2:3], s[6:7], v[46:47]
	s_mov_b32 s10, 0xcf328d46
	s_mov_b32 s12, 0xa6aea964
	s_mov_b32 s11, 0x3fed906b
	s_mov_b32 s13, 0x3fd87de2
	v_add_f64 v[18:19], v[88:89], -v[18:19]
	v_add_f64 v[58:59], v[22:23], v[28:29]
	v_fma_f64 v[78:79], v[4:5], s[4:5], v[8:9]
	v_fma_f64 v[44:45], v[6:7], s[4:5], v[44:45]
	;; [unrolled: 1-line block ×6, first 2 shown]
	v_add_f64 v[24:25], v[92:93], -v[24:25]
	s_mov_b32 s15, 0xbfd87de2
	s_mov_b32 s14, s12
	;; [unrolled: 1-line block ×4, first 2 shown]
	v_fma_f64 v[10:11], v[78:79], s[12:13], v[44:45]
	v_fma_f64 v[2:3], v[48:49], s[12:13], v[0:1]
	;; [unrolled: 1-line block ×5, first 2 shown]
	v_fma_f64 v[26:27], v[94:95], 2.0, -v[26:27]
	v_fma_f64 v[46:47], v[80:81], 2.0, -v[38:39]
	;; [unrolled: 1-line block ×6, first 2 shown]
	v_add_f64 v[56:57], v[18:19], v[24:25]
	v_fma_f64 v[10:11], v[84:85], s[10:11], v[10:11]
	v_fma_f64 v[28:29], v[12:13], 2.0, -v[28:29]
	v_fma_f64 v[24:25], v[92:93], 2.0, -v[24:25]
	;; [unrolled: 1-line block ×5, first 2 shown]
	v_add_f64 v[84:85], v[42:43], -v[26:27]
	v_fma_f64 v[26:27], v[90:91], 2.0, -v[16:17]
	v_fma_f64 v[6:7], v[58:59], s[4:5], v[56:57]
	v_fma_f64 v[58:59], v[34:35], 2.0, -v[44:45]
	v_fma_f64 v[76:77], v[76:77], 2.0, -v[36:37]
	;; [unrolled: 1-line block ×4, first 2 shown]
	v_add_f64 v[28:29], v[54:55], -v[28:29]
	v_fma_f64 v[36:37], v[82:83], 2.0, -v[48:49]
	v_add_f64 v[48:49], v[38:39], -v[30:31]
	v_add_f64 v[82:83], v[26:27], -v[24:25]
	v_fma_f64 v[78:79], v[32:33], 2.0, -v[96:97]
	v_fma_f64 v[6:7], v[60:61], s[4:5], v[6:7]
	v_fma_f64 v[32:33], v[20:21], 2.0, -v[60:61]
	v_fma_f64 v[18:19], v[22:23], s[18:19], v[58:59]
	v_fma_f64 v[60:61], v[16:17], 2.0, -v[62:63]
	v_fma_f64 v[86:87], v[86:87], 2.0, -v[50:51]
	;; [unrolled: 1-line block ×3, first 2 shown]
	v_fma_f64 v[24:25], v[52:53], s[6:7], v[80:81]
	v_fma_f64 v[50:51], v[42:43], 2.0, -v[84:85]
	v_fma_f64 v[34:35], v[38:39], 2.0, -v[48:49]
	;; [unrolled: 1-line block ×4, first 2 shown]
	v_fma_f64 v[20:21], v[40:41], s[18:19], v[78:79]
	v_fma_f64 v[18:19], v[40:41], s[12:13], v[18:19]
	;; [unrolled: 1-line block ×6, first 2 shown]
	v_add_f64 v[34:35], v[50:51], -v[34:35]
	v_add_f64 v[32:33], v[88:89], -v[38:39]
	v_fma_f64 v[16:17], v[22:23], s[14:15], v[20:21]
	v_add_f64 v[26:27], v[84:85], v[28:29]
	v_fma_f64 v[28:29], v[52:53], s[6:7], v[40:41]
	v_fma_f64 v[38:39], v[36:37], s[10:11], v[42:43]
	;; [unrolled: 1-line block ×3, first 2 shown]
	v_add_f64 v[24:25], v[82:83], -v[48:49]
	v_fma_f64 v[50:51], v[50:51], 2.0, -v[34:35]
	v_fma_f64 v[48:49], v[88:89], 2.0, -v[32:33]
	;; [unrolled: 1-line block ×14, first 2 shown]
	v_lshlrev_b32_e32 v76, 12, v68
	v_add3_u32 v76, 0, v76, v75
	ds_write_b128 v76, v[48:51]
	ds_write_b128 v76, v[52:55] offset:256
	ds_write_b128 v76, v[56:59] offset:512
	;; [unrolled: 1-line block ×15, first 2 shown]
.LBB0_18:
	s_or_b64 exec, exec, s[2:3]
	s_waitcnt vmcnt(15)
	v_mul_u32_u24_e32 v0, 7, v68
	s_waitcnt vmcnt(8)
	v_lshlrev_b32_e32 v28, 4, v0
	s_waitcnt vmcnt(0) lgkmcnt(0)
	s_barrier
	global_load_dwordx4 v[0:3], v28, s[20:21]
	global_load_dwordx4 v[4:7], v28, s[20:21] offset:16
	global_load_dwordx4 v[8:11], v28, s[20:21] offset:32
	;; [unrolled: 1-line block ×6, first 2 shown]
	v_add3_u32 v56, 0, v74, v75
	ds_read_b128 v[28:31], v56
	ds_read_b128 v[32:35], v56 offset:4096
	ds_read_b128 v[36:39], v56 offset:8192
	;; [unrolled: 1-line block ×7, first 2 shown]
	v_mul_lo_u32 v60, v68, v66
	v_lshlrev_b32_e32 v74, 4, v66
	s_add_i32 s6, 0, 0x8000
	s_mov_b32 s2, 0x667f3bcd
	v_add_u32_e32 v106, v60, v74
	v_add_u32_e32 v107, v106, v74
	v_lshl_add_u32 v108, v66, 5, v107
	v_add_u32_e32 v109, v108, v74
	v_and_b32_e32 v61, 31, v60
	v_lshrrev_b32_e32 v62, 1, v60
	v_lshrrev_b32_e32 v60, 6, v60
	v_add_u32_e32 v111, v109, v74
	v_lshl_add_u32 v75, v61, 4, 0
	v_and_b32_e32 v61, 0x1f0, v62
	v_and_b32_e32 v60, 0x1f0, v60
	;; [unrolled: 1-line block ×3, first 2 shown]
	v_lshrrev_b32_e32 v63, 1, v106
	v_and_b32_e32 v74, 31, v111
	v_add_u32_e32 v78, s6, v61
	v_add_u32_e32 v60, s6, v60
	v_lshl_add_u32 v76, v62, 4, 0
	v_and_b32_e32 v77, 0x1f0, v63
	v_lshl_add_u32 v79, v74, 4, 0
	ds_read_b128 v[60:63], v60 offset:1024
	ds_read_b64 v[86:87], v76 offset:32768
	v_add_u32_e32 v110, s6, v77
	ds_read_b64 v[88:89], v75 offset:32768
	ds_read_b128 v[74:77], v79 offset:32768
	ds_read_b64 v[90:91], v79 offset:32776
	ds_read_b128 v[78:81], v78 offset:512
	s_mov_b32 s3, 0xbfe6a09e
	v_and_b32_e32 v82, 31, v109
	s_mov_b32 s5, 0x3fe6a09e
	s_mov_b32 s4, s2
	s_waitcnt lgkmcnt(0)
	v_mul_f64 v[94:95], v[76:77], v[80:81]
	v_mul_f64 v[80:81], v[88:89], v[80:81]
	v_lshl_add_u32 v92, v82, 4, 0
	ds_read_b128 v[82:85], v92 offset:32768
	ds_read_b64 v[92:93], v92 offset:32776
	v_mul_lo_u32 v73, v73, v66
	s_or_b64 vcc, vcc, s[0:1]
	s_mov_b32 s11, 0x20000
	s_mov_b32 s10, -2
	v_readfirstlane_b32 s0, v67
	s_waitcnt vmcnt(6)
	v_mul_f64 v[96:97], v[34:35], v[2:3]
	v_mul_f64 v[2:3], v[32:33], v[2:3]
	s_waitcnt vmcnt(5)
	v_mul_f64 v[98:99], v[38:39], v[6:7]
	v_mul_f64 v[6:7], v[36:37], v[6:7]
	;; [unrolled: 3-line block ×4, first 2 shown]
	s_waitcnt vmcnt(2)
	v_mul_f64 v[104:105], v[50:51], v[18:19]
	v_fma_f64 v[32:33], v[32:33], v[0:1], -v[96:97]
	v_fma_f64 v[0:1], v[34:35], v[0:1], v[2:3]
	v_mul_f64 v[2:3], v[48:49], v[18:19]
	s_waitcnt vmcnt(1)
	v_mul_f64 v[18:19], v[54:55], v[22:23]
	v_mul_f64 v[22:23], v[52:53], v[22:23]
	s_waitcnt vmcnt(0)
	v_mul_f64 v[34:35], v[58:59], v[26:27]
	v_fma_f64 v[36:37], v[36:37], v[4:5], -v[98:99]
	v_fma_f64 v[4:5], v[38:39], v[4:5], v[6:7]
	v_mul_f64 v[6:7], v[56:57], v[26:27]
	v_fma_f64 v[26:27], v[40:41], v[8:9], -v[100:101]
	v_fma_f64 v[8:9], v[42:43], v[8:9], v[10:11]
	v_fma_f64 v[10:11], v[44:45], v[12:13], -v[102:103]
	v_fma_f64 v[12:13], v[46:47], v[12:13], v[14:15]
	;; [unrolled: 2-line block ×5, first 2 shown]
	v_add_f64 v[10:11], v[28:29], -v[10:11]
	v_add_f64 v[12:13], v[30:31], -v[12:13]
	v_add_f64 v[14:15], v[36:37], -v[14:15]
	v_add_f64 v[18:19], v[4:5], -v[18:19]
	v_add_f64 v[20:21], v[32:33], -v[20:21]
	v_add_f64 v[2:3], v[0:1], -v[2:3]
	v_add_f64 v[16:17], v[26:27], -v[16:17]
	v_add_f64 v[6:7], v[8:9], -v[6:7]
	v_fma_f64 v[22:23], v[28:29], 2.0, -v[10:11]
	v_fma_f64 v[24:25], v[30:31], 2.0, -v[12:13]
	v_fma_f64 v[28:29], v[36:37], 2.0, -v[14:15]
	v_fma_f64 v[4:5], v[4:5], 2.0, -v[18:19]
	v_fma_f64 v[30:31], v[32:33], 2.0, -v[20:21]
	v_fma_f64 v[0:1], v[0:1], 2.0, -v[2:3]
	v_add_f64 v[18:19], v[10:11], -v[18:19]
	v_fma_f64 v[26:27], v[26:27], 2.0, -v[16:17]
	v_fma_f64 v[8:9], v[8:9], 2.0, -v[6:7]
	v_add_f64 v[6:7], v[20:21], -v[6:7]
	v_add_f64 v[14:15], v[12:13], v[14:15]
	v_add_f64 v[16:17], v[2:3], v[16:17]
	v_add_f64 v[32:33], v[24:25], -v[4:5]
	v_add_f64 v[28:29], v[22:23], -v[28:29]
	v_fma_f64 v[4:5], v[10:11], 2.0, -v[18:19]
	v_add_f64 v[10:11], v[30:31], -v[26:27]
	v_add_f64 v[8:9], v[0:1], -v[8:9]
	v_fma_f64 v[20:21], v[20:21], 2.0, -v[6:7]
	v_fma_f64 v[12:13], v[12:13], 2.0, -v[14:15]
	;; [unrolled: 1-line block ×4, first 2 shown]
	v_fma_f64 v[34:35], v[88:89], v[78:79], -v[94:95]
	v_fma_f64 v[42:43], v[16:17], s[4:5], v[14:15]
	v_fma_f64 v[26:27], v[30:31], 2.0, -v[10:11]
	v_fma_f64 v[0:1], v[0:1], 2.0, -v[8:9]
	v_fma_f64 v[30:31], v[20:21], s[2:3], v[4:5]
	v_fma_f64 v[36:37], v[76:77], v[78:79], v[80:81]
	;; [unrolled: 1-line block ×4, first 2 shown]
	v_mul_f64 v[38:39], v[34:35], v[62:63]
	v_add_f64 v[56:57], v[28:29], -v[8:9]
	v_fma_f64 v[22:23], v[22:23], 2.0, -v[28:29]
	v_add_f64 v[52:53], v[24:25], -v[0:1]
	v_fma_f64 v[54:55], v[2:3], s[2:3], v[30:31]
	ds_read_b128 v[0:3], v110 offset:512
	v_fma_f64 v[80:81], v[20:21], s[4:5], v[44:45]
	v_fma_f64 v[78:79], v[6:7], s[4:5], v[42:43]
	;; [unrolled: 1-line block ×3, first 2 shown]
	v_mul_f64 v[62:63], v[36:37], v[62:63]
	s_waitcnt lgkmcnt(0)
	v_mul_f64 v[8:9], v[84:85], v[2:3]
	v_fma_f64 v[36:37], v[60:61], v[36:37], v[38:39]
	v_add_f64 v[50:51], v[22:23], -v[26:27]
	v_add_f64 v[58:59], v[32:33], v[10:11]
	v_fma_f64 v[44:45], v[12:13], 2.0, -v[80:81]
	v_lshrrev_b32_e32 v12, 1, v107
	v_and_b32_e32 v12, 0x1f0, v12
	v_add_u32_e32 v12, s6, v12
	v_fma_f64 v[38:39], v[86:87], v[0:1], -v[8:9]
	v_and_b32_e32 v8, 31, v107
	v_lshl_add_u32 v8, v8, 4, 0
	v_add_u32_e32 v8, 0x8000, v8
	v_fma_f64 v[48:49], v[14:15], 2.0, -v[78:79]
	ds_read2_b64 v[8:11], v8 offset1:1
	ds_read_b128 v[12:15], v12 offset:512
	v_lshrrev_b32_e32 v16, 6, v107
	v_and_b32_e32 v16, 0x1f0, v16
	v_add_u32_e32 v16, s6, v16
	v_fma_f64 v[42:43], v[4:5], 2.0, -v[54:55]
	v_lshrrev_b32_e32 v4, 6, v106
	v_fma_f64 v[46:47], v[18:19], 2.0, -v[76:77]
	ds_read_b128 v[16:19], v16 offset:1024
	v_mul_f64 v[2:3], v[86:87], v[2:3]
	s_waitcnt lgkmcnt(1)
	v_mul_f64 v[86:87], v[10:11], v[14:15]
	v_lshrrev_b32_e32 v21, 1, v73
	v_and_b32_e32 v4, 0x1f0, v4
	v_and_b32_e32 v20, 31, v73
	;; [unrolled: 1-line block ×3, first 2 shown]
	v_fma_f64 v[40:41], v[24:25], 2.0, -v[52:53]
	v_add_u32_e32 v4, s6, v4
	v_lshl_add_u32 v20, v20, 4, 0
	v_add_u32_e32 v24, s6, v21
	v_fma_f64 v[30:31], v[22:23], 2.0, -v[50:51]
	ds_read_b128 v[4:7], v4 offset:1024
	ds_read_b128 v[20:23], v20 offset:32768
	;; [unrolled: 1-line block ×3, first 2 shown]
	v_fma_f64 v[0:1], v[84:85], v[0:1], v[2:3]
	v_mul_f64 v[14:15], v[8:9], v[14:15]
	v_fma_f64 v[84:85], v[8:9], v[12:13], -v[86:87]
	s_waitcnt lgkmcnt(2)
	v_mul_f64 v[2:3], v[38:39], v[6:7]
	s_waitcnt lgkmcnt(0)
	v_mul_f64 v[8:9], v[22:23], v[26:27]
	v_mul_f64 v[26:27], v[20:21], v[26:27]
	v_fma_f64 v[34:35], v[60:61], v[34:35], -v[62:63]
	v_mul_f64 v[60:61], v[40:41], v[36:37]
	v_mul_f64 v[62:63], v[0:1], v[6:7]
	v_fma_f64 v[10:11], v[10:11], v[12:13], v[14:15]
	v_lshrrev_b32_e32 v6, 1, v108
	v_fma_f64 v[86:87], v[4:5], v[0:1], v[2:3]
	v_fma_f64 v[14:15], v[20:21], v[24:25], -v[8:9]
	v_lshrrev_b32_e32 v0, 6, v73
	v_and_b32_e32 v0, 0x1f0, v0
	v_add_u32_e32 v0, s6, v0
	ds_read_b128 v[0:3], v0 offset:1024
	v_mul_f64 v[12:13], v[84:85], v[18:19]
	v_fma_f64 v[20:21], v[22:23], v[24:25], v[26:27]
	v_and_b32_e32 v6, 0x1f0, v6
	v_add_u32_e32 v6, s6, v6
	ds_read_b128 v[6:9], v6 offset:512
	s_waitcnt lgkmcnt(1)
	v_mul_f64 v[22:23], v[14:15], v[2:3]
	v_fma_f64 v[28:29], v[28:29], 2.0, -v[56:57]
	v_mul_f64 v[24:25], v[30:31], v[36:37]
	v_mul_f64 v[18:19], v[10:11], v[18:19]
	v_fma_f64 v[36:37], v[16:17], v[10:11], v[12:13]
	v_fma_f64 v[10:11], v[30:31], v[34:35], -v[60:61]
	v_mul_f64 v[30:31], v[20:21], v[2:3]
	v_fma_f64 v[32:33], v[32:33], 2.0, -v[58:59]
	v_fma_f64 v[4:5], v[4:5], v[38:39], -v[62:63]
	v_mul_f64 v[26:27], v[44:45], v[86:87]
	v_fma_f64 v[38:39], v[0:1], v[20:21], v[22:23]
	v_mul_f64 v[20:21], v[42:43], v[86:87]
	v_fma_f64 v[12:13], v[40:41], v[34:35], v[24:25]
	v_fma_f64 v[22:23], v[16:17], v[84:85], -v[18:19]
	v_mul_f64 v[24:25], v[28:29], v[36:37]
	v_fma_f64 v[0:1], v[0:1], v[14:15], -v[30:31]
	v_and_b32_e32 v14, 31, v108
	v_lshl_add_u32 v14, v14, 4, 0
	v_fma_f64 v[2:3], v[42:43], v[4:5], -v[26:27]
	v_mul_f64 v[18:19], v[32:33], v[36:37]
	v_mul_f64 v[26:27], v[48:49], v[38:39]
	v_add_u32_e32 v14, 0x8000, v14
	ds_read2_b64 v[14:17], v14 offset1:1
	v_fma_f64 v[4:5], v[44:45], v[4:5], v[20:21]
	v_fma_f64 v[20:21], v[32:33], v[22:23], v[24:25]
	v_mul_f64 v[24:25], v[46:47], v[38:39]
	v_lshrrev_b32_e32 v34, 6, v109
	s_waitcnt lgkmcnt(0)
	v_mul_f64 v[42:43], v[16:17], v[8:9]
	v_mul_f64 v[8:9], v[14:15], v[8:9]
	v_fma_f64 v[18:19], v[28:29], v[22:23], -v[18:19]
	v_fma_f64 v[22:23], v[46:47], v[0:1], -v[26:27]
	v_lshrrev_b32_e32 v26, 6, v108
	v_lshrrev_b32_e32 v27, 1, v109
	v_and_b32_e32 v26, 0x1f0, v26
	v_and_b32_e32 v27, 0x1f0, v27
	v_lshrrev_b32_e32 v35, 1, v111
	v_or_b32_e32 v88, 0x70, v68
	v_add_u32_e32 v26, s6, v26
	v_add_u32_e32 v30, s6, v27
	v_and_b32_e32 v34, 0x1f0, v34
	v_and_b32_e32 v35, 0x1f0, v35
	v_mul_lo_u32 v46, v88, v66
	ds_read_b128 v[26:29], v26 offset:1024
	ds_read_b128 v[30:33], v30 offset:512
	v_add_u32_e32 v34, s6, v34
	v_add_u32_e32 v38, s6, v35
	ds_read_b128 v[34:37], v34 offset:1024
	ds_read_b128 v[38:41], v38 offset:512
	v_fma_f64 v[24:25], v[48:49], v[0:1], v[24:25]
	v_fma_f64 v[0:1], v[14:15], v[6:7], -v[42:43]
	v_fma_f64 v[60:61], v[16:17], v[6:7], v[8:9]
	v_lshrrev_b32_e32 v6, 6, v111
	v_lshrrev_b32_e32 v42, 1, v46
	v_and_b32_e32 v6, 0x1f0, v6
	v_and_b32_e32 v7, 31, v46
	;; [unrolled: 1-line block ×3, first 2 shown]
	s_waitcnt lgkmcnt(2)
	v_mul_f64 v[62:63], v[92:93], v[32:33]
	v_add_u32_e32 v6, s6, v6
	v_lshl_add_u32 v14, v7, 4, 0
	v_add_u32_e32 v42, s6, v42
	s_waitcnt lgkmcnt(0)
	v_mul_f64 v[84:85], v[90:91], v[40:41]
	ds_read_b128 v[6:9], v6 offset:1024
	ds_read_b128 v[14:17], v14 offset:32768
	;; [unrolled: 1-line block ×3, first 2 shown]
	v_lshrrev_b32_e32 v46, 6, v46
	v_and_b32_e32 v46, 0x1f0, v46
	v_add_u32_e32 v46, s6, v46
	ds_read_b128 v[46:49], v46 offset:1024
	s_waitcnt lgkmcnt(1)
	v_mul_f64 v[86:87], v[16:17], v[44:45]
	v_mul_f64 v[32:33], v[82:83], v[32:33]
	v_fma_f64 v[62:63], v[82:83], v[30:31], -v[62:63]
	v_mul_f64 v[82:83], v[0:1], v[28:29]
	v_mul_f64 v[40:41], v[74:75], v[40:41]
	v_fma_f64 v[73:74], v[74:75], v[38:39], -v[84:85]
	;; [unrolled: 3-line block ×3, first 2 shown]
	v_fma_f64 v[30:31], v[92:93], v[30:31], v[32:33]
	v_mul_f64 v[32:33], v[62:63], v[36:37]
	v_fma_f64 v[60:61], v[26:27], v[60:61], v[82:83]
	v_fma_f64 v[38:39], v[90:91], v[38:39], v[40:41]
	v_mul_f64 v[40:41], v[73:74], v[8:9]
	v_fma_f64 v[0:1], v[26:27], v[0:1], -v[28:29]
	v_fma_f64 v[16:17], v[16:17], v[42:43], v[44:45]
	s_waitcnt lgkmcnt(0)
	v_mul_f64 v[26:27], v[14:15], v[48:49]
	v_mul_f64 v[28:29], v[30:31], v[36:37]
	v_fma_f64 v[30:31], v[34:35], v[30:31], v[32:33]
	v_mul_f64 v[32:33], v[52:53], v[60:61]
	v_mul_f64 v[8:9], v[38:39], v[8:9]
	v_fma_f64 v[36:37], v[6:7], v[38:39], v[40:41]
	;; [unrolled: 3-line block ×3, first 2 shown]
	v_fma_f64 v[26:27], v[34:35], v[62:63], -v[28:29]
	v_mul_f64 v[28:29], v[80:81], v[30:31]
	v_mul_f64 v[30:31], v[54:55], v[30:31]
	v_fma_f64 v[34:35], v[6:7], v[73:74], -v[8:9]
	v_fma_f64 v[6:7], v[50:51], v[0:1], -v[32:33]
	v_fma_f64 v[8:9], v[52:53], v[0:1], v[38:39]
	v_add_lshl_u32 v0, v64, v65, 4
	v_cndmask_b32_e32 v0, -1, v0, vcc
	buffer_store_dwordx4 v[10:13], v0, s[8:11], s0 offen
	v_add_lshl_u32 v0, v64, v69, 4
	v_cndmask_b32_e32 v0, -1, v0, vcc
	buffer_store_dwordx4 v[2:5], v0, s[8:11], s0 offen
	v_add_lshl_u32 v0, v64, v70, 4
	v_mul_f64 v[42:43], v[58:59], v[36:37]
	v_mul_f64 v[36:37], v[56:57], v[36:37]
	v_fma_f64 v[40:41], v[46:47], v[14:15], -v[40:41]
	v_mul_f64 v[44:45], v[78:79], v[16:17]
	v_mul_f64 v[46:47], v[76:77], v[16:17]
	v_cndmask_b32_e32 v0, -1, v0, vcc
	buffer_store_dwordx4 v[18:21], v0, s[8:11], s0 offen
	v_add_lshl_u32 v0, v64, v71, 4
	v_fma_f64 v[14:15], v[54:55], v[26:27], -v[28:29]
	v_fma_f64 v[16:17], v[80:81], v[26:27], v[30:31]
	v_cndmask_b32_e32 v0, -1, v0, vcc
	buffer_store_dwordx4 v[22:25], v0, s[8:11], s0 offen
	v_or_b32_e32 v0, 0x50, v68
	v_mul_lo_u32 v0, s16, v0
	v_add_lshl_u32 v1, v64, v72, 4
	v_fma_f64 v[26:27], v[56:57], v[34:35], -v[42:43]
	v_fma_f64 v[28:29], v[58:59], v[34:35], v[36:37]
	v_fma_f64 v[30:31], v[76:77], v[40:41], -v[44:45]
	v_fma_f64 v[32:33], v[78:79], v[40:41], v[46:47]
	v_cndmask_b32_e32 v1, -1, v1, vcc
	v_add_lshl_u32 v0, v64, v0, 4
	buffer_store_dwordx4 v[6:9], v1, s[8:11], s0 offen
	v_or_b32_e32 v1, 0x60, v68
	v_cndmask_b32_e32 v0, -1, v0, vcc
	v_mul_lo_u32 v1, s16, v1
	buffer_store_dwordx4 v[14:17], v0, s[8:11], s0 offen
	v_mul_lo_u32 v0, s16, v88
	v_add_lshl_u32 v1, v64, v1, 4
	v_cndmask_b32_e32 v1, -1, v1, vcc
	v_add_lshl_u32 v0, v64, v0, 4
	v_cndmask_b32_e32 v0, -1, v0, vcc
	buffer_store_dwordx4 v[26:29], v1, s[8:11], s0 offen
	buffer_store_dwordx4 v[30:33], v0, s[8:11], s0 offen
	s_endpgm
	.section	.rodata,"a",@progbits
	.p2align	6, 0x0
	.amdhsa_kernel fft_rtc_fwd_len128_factors_16_8_wgs_256_tpt_16_dp_ip_CI_sbcc_twdbase5_3step_dirReg_intrinsicReadWrite
		.amdhsa_group_segment_fixed_size 0
		.amdhsa_private_segment_fixed_size 0
		.amdhsa_kernarg_size 96
		.amdhsa_user_sgpr_count 6
		.amdhsa_user_sgpr_private_segment_buffer 1
		.amdhsa_user_sgpr_dispatch_ptr 0
		.amdhsa_user_sgpr_queue_ptr 0
		.amdhsa_user_sgpr_kernarg_segment_ptr 1
		.amdhsa_user_sgpr_dispatch_id 0
		.amdhsa_user_sgpr_flat_scratch_init 0
		.amdhsa_user_sgpr_private_segment_size 0
		.amdhsa_uses_dynamic_stack 0
		.amdhsa_system_sgpr_private_segment_wavefront_offset 0
		.amdhsa_system_sgpr_workgroup_id_x 1
		.amdhsa_system_sgpr_workgroup_id_y 0
		.amdhsa_system_sgpr_workgroup_id_z 0
		.amdhsa_system_sgpr_workgroup_info 0
		.amdhsa_system_vgpr_workitem_id 0
		.amdhsa_next_free_vgpr 112
		.amdhsa_next_free_sgpr 39
		.amdhsa_reserve_vcc 1
		.amdhsa_reserve_flat_scratch 0
		.amdhsa_float_round_mode_32 0
		.amdhsa_float_round_mode_16_64 0
		.amdhsa_float_denorm_mode_32 3
		.amdhsa_float_denorm_mode_16_64 3
		.amdhsa_dx10_clamp 1
		.amdhsa_ieee_mode 1
		.amdhsa_fp16_overflow 0
		.amdhsa_exception_fp_ieee_invalid_op 0
		.amdhsa_exception_fp_denorm_src 0
		.amdhsa_exception_fp_ieee_div_zero 0
		.amdhsa_exception_fp_ieee_overflow 0
		.amdhsa_exception_fp_ieee_underflow 0
		.amdhsa_exception_fp_ieee_inexact 0
		.amdhsa_exception_int_div_zero 0
	.end_amdhsa_kernel
	.text
.Lfunc_end0:
	.size	fft_rtc_fwd_len128_factors_16_8_wgs_256_tpt_16_dp_ip_CI_sbcc_twdbase5_3step_dirReg_intrinsicReadWrite, .Lfunc_end0-fft_rtc_fwd_len128_factors_16_8_wgs_256_tpt_16_dp_ip_CI_sbcc_twdbase5_3step_dirReg_intrinsicReadWrite
                                        ; -- End function
	.section	.AMDGPU.csdata,"",@progbits
; Kernel info:
; codeLenInByte = 6012
; NumSgprs: 43
; NumVgprs: 112
; ScratchSize: 0
; MemoryBound: 0
; FloatMode: 240
; IeeeMode: 1
; LDSByteSize: 0 bytes/workgroup (compile time only)
; SGPRBlocks: 5
; VGPRBlocks: 27
; NumSGPRsForWavesPerEU: 43
; NumVGPRsForWavesPerEU: 112
; Occupancy: 2
; WaveLimiterHint : 0
; COMPUTE_PGM_RSRC2:SCRATCH_EN: 0
; COMPUTE_PGM_RSRC2:USER_SGPR: 6
; COMPUTE_PGM_RSRC2:TRAP_HANDLER: 0
; COMPUTE_PGM_RSRC2:TGID_X_EN: 1
; COMPUTE_PGM_RSRC2:TGID_Y_EN: 0
; COMPUTE_PGM_RSRC2:TGID_Z_EN: 0
; COMPUTE_PGM_RSRC2:TIDIG_COMP_CNT: 0
	.type	__hip_cuid_6273a9654b10c114,@object ; @__hip_cuid_6273a9654b10c114
	.section	.bss,"aw",@nobits
	.globl	__hip_cuid_6273a9654b10c114
__hip_cuid_6273a9654b10c114:
	.byte	0                               ; 0x0
	.size	__hip_cuid_6273a9654b10c114, 1

	.ident	"AMD clang version 19.0.0git (https://github.com/RadeonOpenCompute/llvm-project roc-6.4.0 25133 c7fe45cf4b819c5991fe208aaa96edf142730f1d)"
	.section	".note.GNU-stack","",@progbits
	.addrsig
	.addrsig_sym __hip_cuid_6273a9654b10c114
	.amdgpu_metadata
---
amdhsa.kernels:
  - .args:
      - .actual_access:  read_only
        .address_space:  global
        .offset:         0
        .size:           8
        .value_kind:     global_buffer
      - .address_space:  global
        .offset:         8
        .size:           8
        .value_kind:     global_buffer
      - .offset:         16
        .size:           8
        .value_kind:     by_value
      - .actual_access:  read_only
        .address_space:  global
        .offset:         24
        .size:           8
        .value_kind:     global_buffer
      - .actual_access:  read_only
        .address_space:  global
        .offset:         32
        .size:           8
        .value_kind:     global_buffer
      - .offset:         40
        .size:           8
        .value_kind:     by_value
      - .actual_access:  read_only
        .address_space:  global
        .offset:         48
        .size:           8
        .value_kind:     global_buffer
      - .actual_access:  read_only
        .address_space:  global
        .offset:         56
        .size:           8
        .value_kind:     global_buffer
      - .offset:         64
        .size:           4
        .value_kind:     by_value
      - .actual_access:  read_only
        .address_space:  global
        .offset:         72
        .size:           8
        .value_kind:     global_buffer
      - .actual_access:  read_only
        .address_space:  global
        .offset:         80
        .size:           8
        .value_kind:     global_buffer
      - .address_space:  global
        .offset:         88
        .size:           8
        .value_kind:     global_buffer
    .group_segment_fixed_size: 0
    .kernarg_segment_align: 8
    .kernarg_segment_size: 96
    .language:       OpenCL C
    .language_version:
      - 2
      - 0
    .max_flat_workgroup_size: 256
    .name:           fft_rtc_fwd_len128_factors_16_8_wgs_256_tpt_16_dp_ip_CI_sbcc_twdbase5_3step_dirReg_intrinsicReadWrite
    .private_segment_fixed_size: 0
    .sgpr_count:     43
    .sgpr_spill_count: 0
    .symbol:         fft_rtc_fwd_len128_factors_16_8_wgs_256_tpt_16_dp_ip_CI_sbcc_twdbase5_3step_dirReg_intrinsicReadWrite.kd
    .uniform_work_group_size: 1
    .uses_dynamic_stack: false
    .vgpr_count:     112
    .vgpr_spill_count: 0
    .wavefront_size: 64
amdhsa.target:   amdgcn-amd-amdhsa--gfx906
amdhsa.version:
  - 1
  - 2
...

	.end_amdgpu_metadata
